;; amdgpu-corpus repo=zjin-lcf/HeCBench kind=compiled arch=gfx1100 opt=O3
	.text
	.amdgcn_target "amdgcn-amd-amdhsa--gfx1100"
	.amdhsa_code_object_version 6
	.protected	_Z11setupKernelPj       ; -- Begin function _Z11setupKernelPj
	.globl	_Z11setupKernelPj
	.p2align	8
	.type	_Z11setupKernelPj,@function
_Z11setupKernelPj:                      ; @_Z11setupKernelPj
; %bb.0:
	s_clause 0x1
	s_load_b32 s2, s[0:1], 0x14
	s_load_b64 s[0:1], s[0:1], 0x0
	s_waitcnt lgkmcnt(0)
	s_and_b32 s2, s2, 0xffff
	s_delay_alu instid0(SALU_CYCLE_1) | instskip(NEXT) | instid1(VALU_DEP_1)
	v_mad_u64_u32 v[1:2], null, s15, s2, v[0:1]
	v_ashrrev_i32_e32 v2, 31, v1
	s_delay_alu instid0(VALU_DEP_1) | instskip(NEXT) | instid1(VALU_DEP_1)
	v_lshlrev_b64 v[2:3], 2, v[1:2]
	v_add_co_u32 v2, vcc_lo, s0, v2
	s_delay_alu instid0(VALU_DEP_2)
	v_add_co_ci_u32_e32 v3, vcc_lo, s1, v3, vcc_lo
	s_mov_b32 s0, 0
	s_mov_b32 s1, exec_lo
	global_store_b32 v[2:3], v1, off
	v_cmpx_lt_i32_e32 0, v1
	s_cbranch_execz .LBB0_4
; %bb.1:
	v_mov_b32_e32 v0, v1
.LBB0_2:                                ; =>This Inner Loop Header: Depth=1
	s_delay_alu instid0(VALU_DEP_1) | instskip(SKIP_1) | instid1(VALU_DEP_1)
	v_mad_u64_u32 v[4:5], null, 0x1984a2d, v0, 1
	v_add_nc_u32_e32 v1, -1, v1
	v_cmp_eq_u32_e32 vcc_lo, 0, v1
	s_delay_alu instid0(VALU_DEP_3) | instskip(SKIP_1) | instid1(SALU_CYCLE_1)
	v_and_b32_e32 v0, 0x7fffffff, v4
	s_or_b32 s0, vcc_lo, s0
	s_and_not1_b32 exec_lo, exec_lo, s0
	s_cbranch_execnz .LBB0_2
; %bb.3:
	s_or_b32 exec_lo, exec_lo, s0
	global_store_b32 v[2:3], v0, off
.LBB0_4:
	s_nop 0
	s_sendmsg sendmsg(MSG_DEALLOC_VGPRS)
	s_endpgm
	.section	.rodata,"a",@progbits
	.p2align	6, 0x0
	.amdhsa_kernel _Z11setupKernelPj
		.amdhsa_group_segment_fixed_size 0
		.amdhsa_private_segment_fixed_size 0
		.amdhsa_kernarg_size 264
		.amdhsa_user_sgpr_count 15
		.amdhsa_user_sgpr_dispatch_ptr 0
		.amdhsa_user_sgpr_queue_ptr 0
		.amdhsa_user_sgpr_kernarg_segment_ptr 1
		.amdhsa_user_sgpr_dispatch_id 0
		.amdhsa_user_sgpr_private_segment_size 0
		.amdhsa_wavefront_size32 1
		.amdhsa_uses_dynamic_stack 0
		.amdhsa_enable_private_segment 0
		.amdhsa_system_sgpr_workgroup_id_x 1
		.amdhsa_system_sgpr_workgroup_id_y 0
		.amdhsa_system_sgpr_workgroup_id_z 0
		.amdhsa_system_sgpr_workgroup_info 0
		.amdhsa_system_vgpr_workitem_id 0
		.amdhsa_next_free_vgpr 6
		.amdhsa_next_free_sgpr 16
		.amdhsa_reserve_vcc 1
		.amdhsa_float_round_mode_32 0
		.amdhsa_float_round_mode_16_64 0
		.amdhsa_float_denorm_mode_32 3
		.amdhsa_float_denorm_mode_16_64 3
		.amdhsa_dx10_clamp 1
		.amdhsa_ieee_mode 1
		.amdhsa_fp16_overflow 0
		.amdhsa_workgroup_processor_mode 1
		.amdhsa_memory_ordered 1
		.amdhsa_forward_progress 0
		.amdhsa_shared_vgpr_count 0
		.amdhsa_exception_fp_ieee_invalid_op 0
		.amdhsa_exception_fp_denorm_src 0
		.amdhsa_exception_fp_ieee_div_zero 0
		.amdhsa_exception_fp_ieee_overflow 0
		.amdhsa_exception_fp_ieee_underflow 0
		.amdhsa_exception_fp_ieee_inexact 0
		.amdhsa_exception_int_div_zero 0
	.end_amdhsa_kernel
	.text
.Lfunc_end0:
	.size	_Z11setupKernelPj, .Lfunc_end0-_Z11setupKernelPj
                                        ; -- End function
	.section	.AMDGPU.csdata,"",@progbits
; Kernel info:
; codeLenInByte = 176
; NumSgprs: 18
; NumVgprs: 6
; ScratchSize: 0
; MemoryBound: 0
; FloatMode: 240
; IeeeMode: 1
; LDSByteSize: 0 bytes/workgroup (compile time only)
; SGPRBlocks: 2
; VGPRBlocks: 0
; NumSGPRsForWavesPerEU: 18
; NumVGPRsForWavesPerEU: 6
; Occupancy: 16
; WaveLimiterHint : 0
; COMPUTE_PGM_RSRC2:SCRATCH_EN: 0
; COMPUTE_PGM_RSRC2:USER_SGPR: 15
; COMPUTE_PGM_RSRC2:TRAP_HANDLER: 0
; COMPUTE_PGM_RSRC2:TGID_X_EN: 1
; COMPUTE_PGM_RSRC2:TGID_Y_EN: 0
; COMPUTE_PGM_RSRC2:TGID_Z_EN: 0
; COMPUTE_PGM_RSRC2:TIDIG_COMP_CNT: 0
	.text
	.protected	_Z6decodePKfPKiPKjPi    ; -- Begin function _Z6decodePKfPKiPKjPi
	.globl	_Z6decodePKfPKiPKjPi
	.p2align	8
	.type	_Z6decodePKfPKiPKjPi,@function
_Z6decodePKfPKiPKjPi:                   ; @_Z6decodePKfPKiPKjPi
; %bb.0:
	s_clause 0x1
	s_load_b32 s4, s[0:1], 0x2c
	s_load_b64 s[2:3], s[0:1], 0x10
	s_mov_b32 s20, exec_lo
	s_waitcnt lgkmcnt(0)
	s_and_b32 s4, s4, 0xffff
	s_delay_alu instid0(SALU_CYCLE_1) | instskip(NEXT) | instid1(VALU_DEP_1)
	v_mad_u64_u32 v[64:65], null, s15, s4, v[0:1]
	v_ashrrev_i32_e32 v65, 31, v64
	s_delay_alu instid0(VALU_DEP_1) | instskip(NEXT) | instid1(VALU_DEP_1)
	v_lshlrev_b64 v[1:2], 2, v[64:65]
	v_add_co_u32 v1, vcc_lo, s2, v1
	s_delay_alu instid0(VALU_DEP_2)
	v_add_co_ci_u32_e32 v2, vcc_lo, s3, v2, vcc_lo
	global_load_b32 v6, v[1:2], off
	v_cmpx_eq_u32_e32 0, v0
	s_cbranch_execz .LBB1_2
; %bb.1:
	s_load_b64 s[2:3], s[0:1], 0x0
	s_waitcnt lgkmcnt(0)
	s_clause 0x3
	s_load_b512 s[4:19], s[2:3], 0x0
	s_load_b512 s[52:67], s[2:3], 0x40
	;; [unrolled: 1-line block ×4, first 2 shown]
	s_waitcnt lgkmcnt(0)
	v_dual_mov_b32 v0, 0 :: v_dual_mov_b32 v1, s4
	v_dual_mov_b32 v2, s5 :: v_dual_mov_b32 v3, s6
	;; [unrolled: 1-line block ×18, first 2 shown]
	v_mov_b32_e32 v38, s71
	ds_store_b128 v0, v[1:4]
	ds_store_b128 v0, v[7:10] offset:16
	ds_store_b128 v0, v[11:14] offset:32
	ds_store_b128 v0, v[15:18] offset:48
	v_dual_mov_b32 v1, s72 :: v_dual_mov_b32 v2, s73
	v_dual_mov_b32 v3, s74 :: v_dual_mov_b32 v4, s75
	ds_store_b128 v0, v[19:22] offset:64
	ds_store_b128 v0, v[23:26] offset:80
	;; [unrolled: 1-line block ×6, first 2 shown]
	v_dual_mov_b32 v1, s76 :: v_dual_mov_b32 v2, s77
	v_dual_mov_b32 v3, s78 :: v_dual_mov_b32 v4, s79
	v_mov_b32_e32 v7, s80
	s_load_b512 s[4:19], s[2:3], 0x100
	v_dual_mov_b32 v8, s81 :: v_dual_mov_b32 v9, s82
	v_dual_mov_b32 v10, s83 :: v_dual_mov_b32 v11, s36
	v_dual_mov_b32 v12, s37 :: v_dual_mov_b32 v13, s38
	v_dual_mov_b32 v14, s39 :: v_dual_mov_b32 v15, s40
	v_dual_mov_b32 v16, s41 :: v_dual_mov_b32 v17, s42
	v_dual_mov_b32 v18, s43 :: v_dual_mov_b32 v19, s44
	v_dual_mov_b32 v20, s45 :: v_dual_mov_b32 v21, s46
	v_dual_mov_b32 v22, s47 :: v_dual_mov_b32 v23, s48
	v_dual_mov_b32 v24, s49 :: v_dual_mov_b32 v25, s50
	v_mov_b32_e32 v26, s51
	ds_store_b128 v0, v[1:4] offset:160
	ds_store_b128 v0, v[7:10] offset:176
	;; [unrolled: 1-line block ×6, first 2 shown]
	s_waitcnt lgkmcnt(0)
	v_mov_b32_e32 v1, s4
	s_load_b512 s[36:51], s[2:3], 0x140
	v_dual_mov_b32 v2, s5 :: v_dual_mov_b32 v3, s6
	v_dual_mov_b32 v4, s7 :: v_dual_mov_b32 v7, s8
	v_dual_mov_b32 v8, s9 :: v_dual_mov_b32 v9, s10
	v_dual_mov_b32 v10, s11 :: v_dual_mov_b32 v11, s12
	v_dual_mov_b32 v12, s13 :: v_dual_mov_b32 v13, s14
	v_dual_mov_b32 v14, s15 :: v_dual_mov_b32 v15, s16
	v_dual_mov_b32 v16, s17 :: v_dual_mov_b32 v17, s18
	v_mov_b32_e32 v18, s19
	s_load_b512 s[4:19], s[2:3], 0x180
	ds_store_b128 v0, v[1:4] offset:256
	ds_store_b128 v0, v[7:10] offset:272
	ds_store_b128 v0, v[11:14] offset:288
	ds_store_b128 v0, v[15:18] offset:304
	s_waitcnt lgkmcnt(0)
	v_dual_mov_b32 v1, s36 :: v_dual_mov_b32 v2, s37
	v_dual_mov_b32 v3, s38 :: v_dual_mov_b32 v4, s39
	v_dual_mov_b32 v7, s40 :: v_dual_mov_b32 v8, s41
	v_dual_mov_b32 v9, s42 :: v_dual_mov_b32 v10, s43
	v_dual_mov_b32 v11, s44 :: v_dual_mov_b32 v12, s45
	v_dual_mov_b32 v13, s46 :: v_dual_mov_b32 v14, s47
	v_dual_mov_b32 v15, s48 :: v_dual_mov_b32 v16, s49
	v_dual_mov_b32 v17, s50 :: v_dual_mov_b32 v18, s51
	v_mov_b32_e32 v19, s4
	s_load_b512 s[36:51], s[2:3], 0x1c0
	v_dual_mov_b32 v20, s5 :: v_dual_mov_b32 v21, s6
	v_dual_mov_b32 v22, s7 :: v_dual_mov_b32 v23, s8
	v_dual_mov_b32 v24, s9 :: v_dual_mov_b32 v25, s10
	v_mov_b32_e32 v26, s11
	ds_store_b128 v0, v[1:4] offset:320
	ds_store_b128 v0, v[7:10] offset:336
	ds_store_b128 v0, v[11:14] offset:352
	ds_store_b128 v0, v[15:18] offset:368
	ds_store_b128 v0, v[19:22] offset:384
	ds_store_b128 v0, v[23:26] offset:400
	v_dual_mov_b32 v1, s12 :: v_dual_mov_b32 v2, s13
	v_dual_mov_b32 v3, s14 :: v_dual_mov_b32 v4, s15
	v_dual_mov_b32 v7, s16 :: v_dual_mov_b32 v8, s17
	v_dual_mov_b32 v9, s18 :: v_dual_mov_b32 v10, s19
	s_load_b512 s[4:19], s[2:3], 0x200
	s_waitcnt lgkmcnt(0)
	v_dual_mov_b32 v11, s36 :: v_dual_mov_b32 v12, s37
	v_dual_mov_b32 v13, s38 :: v_dual_mov_b32 v14, s39
	v_dual_mov_b32 v15, s40 :: v_dual_mov_b32 v16, s41
	v_dual_mov_b32 v17, s42 :: v_dual_mov_b32 v18, s43
	v_dual_mov_b32 v19, s44 :: v_dual_mov_b32 v20, s45
	v_dual_mov_b32 v21, s46 :: v_dual_mov_b32 v22, s47
	v_dual_mov_b32 v23, s48 :: v_dual_mov_b32 v24, s49
	v_dual_mov_b32 v25, s50 :: v_dual_mov_b32 v26, s51
	ds_store_b128 v0, v[1:4] offset:416
	ds_store_b128 v0, v[7:10] offset:432
	ds_store_b128 v0, v[11:14] offset:448
	ds_store_b128 v0, v[15:18] offset:464
	ds_store_b128 v0, v[19:22] offset:480
	ds_store_b128 v0, v[23:26] offset:496
	v_mov_b32_e32 v1, s4
	s_load_b512 s[36:51], s[2:3], 0x240
	v_dual_mov_b32 v2, s5 :: v_dual_mov_b32 v3, s6
	v_dual_mov_b32 v4, s7 :: v_dual_mov_b32 v7, s8
	v_dual_mov_b32 v8, s9 :: v_dual_mov_b32 v9, s10
	v_dual_mov_b32 v10, s11 :: v_dual_mov_b32 v11, s12
	v_dual_mov_b32 v12, s13 :: v_dual_mov_b32 v13, s14
	v_dual_mov_b32 v14, s15 :: v_dual_mov_b32 v15, s16
	v_dual_mov_b32 v16, s17 :: v_dual_mov_b32 v17, s18
	v_mov_b32_e32 v18, s19
	s_load_b512 s[4:19], s[2:3], 0x280
	ds_store_b128 v0, v[1:4] offset:512
	ds_store_b128 v0, v[7:10] offset:528
	ds_store_b128 v0, v[11:14] offset:544
	ds_store_b128 v0, v[15:18] offset:560
	s_waitcnt lgkmcnt(0)
	v_dual_mov_b32 v1, s36 :: v_dual_mov_b32 v2, s37
	v_dual_mov_b32 v3, s38 :: v_dual_mov_b32 v4, s39
	v_dual_mov_b32 v7, s40 :: v_dual_mov_b32 v8, s41
	v_dual_mov_b32 v9, s42 :: v_dual_mov_b32 v10, s43
	v_dual_mov_b32 v11, s44 :: v_dual_mov_b32 v12, s45
	v_dual_mov_b32 v13, s46 :: v_dual_mov_b32 v14, s47
	v_dual_mov_b32 v15, s48 :: v_dual_mov_b32 v16, s49
	v_dual_mov_b32 v17, s50 :: v_dual_mov_b32 v18, s51
	v_mov_b32_e32 v19, s4
	s_load_b512 s[36:51], s[2:3], 0x2c0
	v_dual_mov_b32 v20, s5 :: v_dual_mov_b32 v21, s6
	v_dual_mov_b32 v22, s7 :: v_dual_mov_b32 v23, s8
	v_dual_mov_b32 v24, s9 :: v_dual_mov_b32 v25, s10
	v_mov_b32_e32 v26, s11
	ds_store_b128 v0, v[1:4] offset:576
	ds_store_b128 v0, v[7:10] offset:592
	ds_store_b128 v0, v[11:14] offset:608
	ds_store_b128 v0, v[15:18] offset:624
	ds_store_b128 v0, v[19:22] offset:640
	ds_store_b128 v0, v[23:26] offset:656
	v_dual_mov_b32 v1, s12 :: v_dual_mov_b32 v2, s13
	v_dual_mov_b32 v3, s14 :: v_dual_mov_b32 v4, s15
	v_dual_mov_b32 v7, s16 :: v_dual_mov_b32 v8, s17
	v_dual_mov_b32 v9, s18 :: v_dual_mov_b32 v10, s19
	s_load_b512 s[4:19], s[2:3], 0x300
	s_waitcnt lgkmcnt(0)
	v_dual_mov_b32 v11, s36 :: v_dual_mov_b32 v12, s37
	v_dual_mov_b32 v13, s38 :: v_dual_mov_b32 v14, s39
	v_dual_mov_b32 v15, s40 :: v_dual_mov_b32 v16, s41
	v_dual_mov_b32 v17, s42 :: v_dual_mov_b32 v18, s43
	v_dual_mov_b32 v19, s44 :: v_dual_mov_b32 v20, s45
	v_dual_mov_b32 v21, s46 :: v_dual_mov_b32 v22, s47
	v_dual_mov_b32 v23, s48 :: v_dual_mov_b32 v24, s49
	v_dual_mov_b32 v25, s50 :: v_dual_mov_b32 v26, s51
	ds_store_b128 v0, v[1:4] offset:672
	ds_store_b128 v0, v[7:10] offset:688
	ds_store_b128 v0, v[11:14] offset:704
	ds_store_b128 v0, v[15:18] offset:720
	ds_store_b128 v0, v[19:22] offset:736
	ds_store_b128 v0, v[23:26] offset:752
	;; [unrolled: 56-line block ×8, first 2 shown]
	v_mov_b32_e32 v1, s4
	s_load_b512 s[36:51], s[2:3], 0x940
	v_dual_mov_b32 v2, s5 :: v_dual_mov_b32 v3, s6
	v_dual_mov_b32 v4, s7 :: v_dual_mov_b32 v7, s8
	;; [unrolled: 1-line block ×7, first 2 shown]
	v_mov_b32_e32 v18, s19
	s_load_b512 s[4:19], s[2:3], 0x980
	ds_store_b128 v0, v[1:4] offset:2304
	ds_store_b128 v0, v[7:10] offset:2320
	;; [unrolled: 1-line block ×4, first 2 shown]
	s_load_b512 s[52:67], s[2:3], 0x9c0
	s_waitcnt lgkmcnt(0)
	v_dual_mov_b32 v1, s36 :: v_dual_mov_b32 v2, s37
	v_dual_mov_b32 v3, s38 :: v_dual_mov_b32 v4, s39
	;; [unrolled: 1-line block ×12, first 2 shown]
	ds_store_b128 v0, v[1:4] offset:2368
	ds_store_b128 v0, v[7:10] offset:2384
	;; [unrolled: 1-line block ×6, first 2 shown]
	v_dual_mov_b32 v1, s12 :: v_dual_mov_b32 v2, s13
	v_dual_mov_b32 v3, s14 :: v_dual_mov_b32 v4, s15
	;; [unrolled: 1-line block ×4, first 2 shown]
	v_mov_b32_e32 v11, s52
	s_load_b512 s[36:51], s[2:3], 0xa00
	v_dual_mov_b32 v12, s53 :: v_dual_mov_b32 v13, s54
	v_dual_mov_b32 v14, s55 :: v_dual_mov_b32 v15, s56
	;; [unrolled: 1-line block ×7, first 2 shown]
	v_mov_b32_e32 v26, s67
	ds_store_b128 v0, v[1:4] offset:2464
	ds_store_b128 v0, v[7:10] offset:2480
	;; [unrolled: 1-line block ×6, first 2 shown]
	s_clause 0x1
	s_load_b512 s[4:19], s[2:3], 0xa40
	s_load_b128 s[24:27], s[2:3], 0xa80
	s_waitcnt lgkmcnt(0)
	v_dual_mov_b32 v1, s36 :: v_dual_mov_b32 v2, s37
	v_dual_mov_b32 v3, s38 :: v_dual_mov_b32 v4, s39
	v_dual_mov_b32 v7, s40 :: v_dual_mov_b32 v8, s41
	v_dual_mov_b32 v9, s42 :: v_dual_mov_b32 v10, s43
	v_dual_mov_b32 v11, s44 :: v_dual_mov_b32 v12, s45
	v_dual_mov_b32 v13, s46 :: v_dual_mov_b32 v14, s47
	v_dual_mov_b32 v15, s48 :: v_dual_mov_b32 v16, s49
	v_dual_mov_b32 v17, s50 :: v_dual_mov_b32 v18, s51
	ds_store_b128 v0, v[1:4] offset:2560
	ds_store_b128 v0, v[7:10] offset:2576
	;; [unrolled: 1-line block ×4, first 2 shown]
	v_dual_mov_b32 v1, s4 :: v_dual_mov_b32 v2, s5
	v_dual_mov_b32 v3, s6 :: v_dual_mov_b32 v4, s7
	;; [unrolled: 1-line block ×10, first 2 shown]
	ds_store_b128 v0, v[1:4] offset:2624
	ds_store_b128 v0, v[7:10] offset:2640
	;; [unrolled: 1-line block ×5, first 2 shown]
.LBB1_2:
	s_or_b32 exec_lo, exec_lo, s20
	s_waitcnt vmcnt(0)
	v_mad_u64_u32 v[4:5], null, 0x1984a2d, v6, 1
	v_dual_mov_b32 v0, 0 :: v_dual_mov_b32 v1, 1
	v_dual_mov_b32 v2, 2 :: v_dual_mov_b32 v3, 3
	;; [unrolled: 1-line block ×3, first 2 shown]
	s_delay_alu instid0(VALU_DEP_4)
	v_dual_mov_b32 v18, 15 :: v_dual_and_b32 v5, 0x7fffffff, v4
	v_dual_mov_b32 v9, 6 :: v_dual_mov_b32 v10, 7
	s_waitcnt lgkmcnt(0)
	s_barrier
	buffer_gl0_inv
	s_clause 0x1
	scratch_store_b128 off, v[0:3], off offset:1824
	scratch_store_b128 off, v[7:10], off offset:1840
	v_cvt_f32_u32_e32 v1, v5
	v_dual_mov_b32 v11, 8 :: v_dual_mov_b32 v12, 9
	v_dual_mov_b32 v13, 10 :: v_dual_mov_b32 v14, 11
	s_delay_alu instid0(VALU_DEP_3) | instskip(SKIP_2) | instid1(VALU_DEP_3)
	v_dual_mul_f32 v1, 0x30000000, v1 :: v_dual_mov_b32 v10, 21
	v_dual_mov_b32 v15, 12 :: v_dual_mov_b32 v16, 13
	v_dual_mov_b32 v17, 14 :: v_dual_mov_b32 v6, 17
	v_mul_f32_e32 v1, 0x41f00000, v1
	s_clause 0x1
	scratch_store_b128 off, v[11:14], off offset:1856
	scratch_store_b128 off, v[15:18], off offset:1872
	v_dual_mov_b32 v16, 27 :: v_dual_mov_b32 v5, 16
	v_dual_mov_b32 v8, 19 :: v_dual_mov_b32 v7, 18
	v_mov_b32_e32 v12, 23
	v_cvt_i32_f32_e32 v1, v1
	v_dual_mov_b32 v9, 20 :: v_dual_mov_b32 v14, 25
	v_dual_mov_b32 v11, 22 :: v_dual_mov_b32 v2, 28
	v_mov_b32_e32 v13, 24
	v_mov_b32_e32 v15, 26
	;; [unrolled: 1-line block ×3, first 2 shown]
	s_mov_b32 s2, exec_lo
	s_clause 0x3
	scratch_store_b128 off, v[5:8], off offset:1888
	scratch_store_b128 off, v[9:12], off offset:1904
	;; [unrolled: 1-line block ×3, first 2 shown]
	scratch_store_b64 off, v[2:3], off offset:1936
	v_cmpx_ne_u32_e32 0, v1
	s_cbranch_execz .LBB1_4
; %bb.3:
	v_lshl_add_u32 v1, v1, 2, 0x720
	scratch_load_b32 v2, v1, off
	scratch_store_b32 v1, v0, off
	s_waitcnt vmcnt(0)
	scratch_store_b32 off, v2, off offset:1824
.LBB1_4:
	s_or_b32 exec_lo, exec_lo, s2
	v_mad_u64_u32 v[0:1], null, 0x1984a2d, v4, 1
	s_mov_b32 s2, exec_lo
	s_delay_alu instid0(VALU_DEP_1) | instskip(NEXT) | instid1(VALU_DEP_1)
	v_and_b32_e32 v1, 0x7fffffff, v0
	v_cvt_f32_u32_e32 v1, v1
	s_delay_alu instid0(VALU_DEP_1) | instskip(NEXT) | instid1(VALU_DEP_1)
	v_mul_f32_e32 v1, 0x30000000, v1
	v_mul_f32_e32 v1, 0x41f00000, v1
	s_delay_alu instid0(VALU_DEP_1) | instskip(NEXT) | instid1(VALU_DEP_1)
	v_cvt_i32_f32_e32 v1, v1
	v_cmpx_ne_u32_e32 1, v1
	s_cbranch_execz .LBB1_6
; %bb.5:
	v_lshl_add_u32 v1, v1, 2, 0x720
	scratch_load_b32 v2, v1, off
	scratch_load_b32 v3, off, off offset:1828
	s_waitcnt vmcnt(0)
	v_sub_nc_u32_e32 v2, v3, v2
	scratch_store_b32 off, v2, off offset:1828
	scratch_load_b32 v3, v1, off
	s_waitcnt vmcnt(0)
	v_add_nc_u32_e32 v2, v3, v2
	scratch_store_b32 v1, v2, off
	scratch_load_b32 v1, off, off offset:1828
	s_waitcnt vmcnt(0)
	v_sub_nc_u32_e32 v1, v2, v1
	scratch_store_b32 off, v1, off offset:1828
.LBB1_6:
	s_or_b32 exec_lo, exec_lo, s2
	v_mad_u64_u32 v[1:2], null, 0x1984a2d, v0, 1
	s_mov_b32 s2, exec_lo
	s_delay_alu instid0(VALU_DEP_1) | instskip(NEXT) | instid1(VALU_DEP_1)
	v_and_b32_e32 v0, 0x7fffffff, v1
	v_cvt_f32_u32_e32 v0, v0
	s_delay_alu instid0(VALU_DEP_1) | instskip(NEXT) | instid1(VALU_DEP_1)
	v_mul_f32_e32 v0, 0x30000000, v0
	v_mul_f32_e32 v0, 0x41f00000, v0
	s_delay_alu instid0(VALU_DEP_1) | instskip(NEXT) | instid1(VALU_DEP_1)
	v_cvt_i32_f32_e32 v0, v0
	v_cmpx_ne_u32_e32 2, v0
	s_cbranch_execz .LBB1_8
; %bb.7:
	v_lshl_add_u32 v0, v0, 2, 0x720
	scratch_load_b32 v2, v0, off
	scratch_load_b32 v3, off, off offset:1832
	s_waitcnt vmcnt(0)
	v_sub_nc_u32_e32 v2, v3, v2
	scratch_store_b32 off, v2, off offset:1832
	scratch_load_b32 v3, v0, off
	s_waitcnt vmcnt(0)
	v_add_nc_u32_e32 v2, v3, v2
	scratch_store_b32 v0, v2, off
	scratch_load_b32 v0, off, off offset:1832
	s_waitcnt vmcnt(0)
	v_sub_nc_u32_e32 v0, v2, v0
	scratch_store_b32 off, v0, off offset:1832
.LBB1_8:
	;; [unrolled: 29-line block ×28, first 2 shown]
	s_or_b32 exec_lo, exec_lo, s2
	scratch_load_b32 v68, off, off offset:1940
	v_mad_u64_u32 v[1:2], null, 0x1984a2d, v0, 1
	s_clause 0x1
	s_load_b64 s[8:9], s[0:1], 0x8
	s_load_b64 s[2:3], s[0:1], 0x18
	s_mov_b32 s0, exec_lo
	s_delay_alu instid0(VALU_DEP_1) | instskip(NEXT) | instid1(VALU_DEP_1)
	v_and_b32_e32 v72, 0x7fffffff, v1
	v_cvt_f32_u32_e32 v0, v72
	s_delay_alu instid0(VALU_DEP_1) | instskip(NEXT) | instid1(VALU_DEP_1)
	v_mul_f32_e32 v0, 0x30000000, v0
	v_mul_f32_e32 v0, 0x41f00000, v0
	s_delay_alu instid0(VALU_DEP_1) | instskip(NEXT) | instid1(VALU_DEP_1)
	v_cvt_i32_f32_e32 v0, v0
	v_cmpx_ne_u32_e32 29, v0
	s_cbranch_execz .LBB1_62
; %bb.61:
	v_lshl_add_u32 v0, v0, 2, 0x720
	scratch_load_b32 v1, v0, off
	s_waitcnt vmcnt(0)
	v_sub_nc_u32_e32 v1, v68, v1
	scratch_store_b32 off, v1, off offset:1940
	scratch_load_b32 v2, v0, off
	s_waitcnt vmcnt(0)
	v_add_nc_u32_e32 v1, v2, v1
	scratch_store_b32 v0, v1, off
	scratch_load_b32 v0, off, off offset:1940
	s_waitcnt vmcnt(0)
	v_sub_nc_u32_e32 v68, v1, v0
	scratch_store_b32 off, v68, off offset:1940
.LBB1_62:
	s_or_b32 exec_lo, exec_lo, s0
	s_clause 0x7
	scratch_load_b128 v[4:7], off, off offset:1824
	scratch_load_b128 v[8:11], off, off offset:1840
	;; [unrolled: 1-line block ×7, first 2 shown]
	scratch_load_b32 v67, off, off offset:1936
	v_dual_mov_b32 v73, 0x497423f0 :: v_dual_mov_b32 v0, 14
	v_mov_b32_e32 v71, 0x7a0
	v_mov_b32_e32 v65, 13
	s_mov_b32 s4, 13
	s_mov_b32 s1, 0
	;; [unrolled: 1-line block ×8, first 2 shown]
	s_branch .LBB1_65
.LBB1_63:                               ;   in Loop: Header=BB1_65 Depth=1
	v_dual_mov_b32 v73, v66 :: v_dual_mov_b32 v4, v32
	v_dual_mov_b32 v5, v33 :: v_dual_mov_b32 v6, v34
	;; [unrolled: 1-line block ×15, first 2 shown]
	v_mov_b32_e32 v67, v69
.LBB1_64:                               ;   in Loop: Header=BB1_65 Depth=1
	s_or_b32 exec_lo, exec_lo, s0
	s_add_i32 s1, s1, 1
	s_delay_alu instid0(SALU_CYCLE_1)
	s_cmp_eq_u32 s1, 0x249f0
	s_cbranch_scc1 .LBB1_109
.LBB1_65:                               ; =>This Loop Header: Depth=1
                                        ;     Child Loop BB1_69 Depth 2
                                        ;     Child Loop BB1_75 Depth 2
                                        ;       Child Loop BB1_78 Depth 3
                                        ;     Child Loop BB1_87 Depth 2
                                        ;     Child Loop BB1_93 Depth 2
                                        ;       Child Loop BB1_95 Depth 3
                                        ;     Child Loop BB1_98 Depth 2
                                        ;     Child Loop BB1_101 Depth 2
	;; [unrolled: 1-line block ×3, first 2 shown]
	v_mad_u64_u32 v[1:2], null, 0x1984a2d, v72, 1
	s_mov_b32 s0, exec_lo
                                        ; implicit-def: $vgpr72
	s_delay_alu instid0(VALU_DEP_1) | instskip(NEXT) | instid1(VALU_DEP_1)
	v_and_b32_e32 v3, 0x7fffffff, v1
	v_cvt_f32_u32_e32 v2, v3
	s_delay_alu instid0(VALU_DEP_1) | instskip(NEXT) | instid1(VALU_DEP_1)
	v_mul_f32_e32 v2, 0x30000000, v2
	v_mul_f32_e32 v2, 0x42c80000, v2
	s_delay_alu instid0(VALU_DEP_1) | instskip(NEXT) | instid1(VALU_DEP_1)
	v_cvt_i32_f32_e32 v2, v2
	v_cmpx_lt_i32_e32 49, v2
	s_xor_b32 s0, exec_lo, s0
	s_cbranch_execz .LBB1_83
; %bb.66:                               ;   in Loop: Header=BB1_65 Depth=1
	s_mov_b32 s13, exec_lo
                                        ; implicit-def: $vgpr72
	v_cmpx_lt_u32_e32 0x45, v2
	s_xor_b32 s13, exec_lo, s13
	s_cbranch_execz .LBB1_71
; %bb.67:                               ;   in Loop: Header=BB1_65 Depth=1
	v_mad_u64_u32 v[2:3], null, v1, s11, 0x1984a2e
	s_movk_i32 s14, 0x1420
	s_waitcnt vmcnt(7)
	scratch_store_b128 off, v[4:7], s14
	s_waitcnt vmcnt(6)
	scratch_store_b128 off, v[8:11], s14 offset:16
	s_waitcnt vmcnt(5)
	scratch_store_b128 off, v[12:15], s14 offset:32
	;; [unrolled: 2-line block ×6, first 2 shown]
	s_waitcnt vmcnt(0)
	scratch_store_b64 off, v[67:68], s14 offset:112
	s_mov_b32 s14, exec_lo
	v_and_b32_e32 v2, 0x7fffffff, v2
	s_delay_alu instid0(VALU_DEP_1) | instskip(NEXT) | instid1(VALU_DEP_1)
	v_cvt_f32_u32_e32 v2, v2
	v_mul_f32_e32 v32, 0x30000000, v2
	v_mad_u64_u32 v[2:3], null, v1, s12, 0xffffffff86865617
	s_delay_alu instid0(VALU_DEP_2) | instskip(NEXT) | instid1(VALU_DEP_2)
	v_mul_f32_e32 v3, 0x41e80000, v32
	v_and_b32_e32 v72, 0x7fffffff, v2
	s_delay_alu instid0(VALU_DEP_2) | instskip(NEXT) | instid1(VALU_DEP_2)
	v_cvt_i32_f32_e32 v2, v3
	v_cvt_f32_u32_e32 v3, v72
	s_delay_alu instid0(VALU_DEP_1) | instskip(NEXT) | instid1(VALU_DEP_1)
	v_dual_mul_f32 v3, 0x30000000, v3 :: v_dual_add_nc_u32 v32, 1, v2
	v_cvt_f32_i32_e32 v32, v32
	s_delay_alu instid0(VALU_DEP_1) | instskip(NEXT) | instid1(VALU_DEP_1)
	v_fmac_f32_e32 v32, 0x41e00000, v3
	v_cvt_i32_f32_e32 v3, v32
	s_delay_alu instid0(VALU_DEP_1) | instskip(NEXT) | instid1(VALU_DEP_1)
	v_mul_hi_i32 v32, 0x88888889, v3
	v_add_nc_u32_e32 v32, v32, v3
	s_delay_alu instid0(VALU_DEP_1) | instskip(SKIP_1) | instid1(VALU_DEP_1)
	v_lshrrev_b32_e32 v33, 31, v32
	v_ashrrev_i32_e32 v32, 4, v32
	v_add_nc_u32_e32 v32, v32, v33
	s_delay_alu instid0(VALU_DEP_1) | instskip(NEXT) | instid1(VALU_DEP_1)
	v_mul_lo_u32 v32, v32, 30
	v_sub_nc_u32_e32 v3, v3, v32
	v_mad_u64_u32 v[32:33], null, 0x1984a2d, v1, 1
	s_delay_alu instid0(VALU_DEP_2) | instskip(NEXT) | instid1(VALU_DEP_2)
	v_sub_nc_u32_e32 v3, v3, v2
	v_and_b32_e32 v32, 0x7fffffff, v32
	s_delay_alu instid0(VALU_DEP_1) | instskip(NEXT) | instid1(VALU_DEP_1)
	v_cvt_f32_u32_e32 v32, v32
	v_dual_mul_f32 v32, 0x30000000, v32 :: v_dual_add_nc_u32 v3, 30, v3
	s_delay_alu instid0(VALU_DEP_1) | instskip(NEXT) | instid1(VALU_DEP_2)
	v_mul_hi_i32 v34, 0x88888889, v3
	v_fma_f32 v32, 0x41e00000, v32, 1.0
	s_delay_alu instid0(VALU_DEP_2) | instskip(NEXT) | instid1(VALU_DEP_2)
	v_add_nc_u32_e32 v1, v34, v3
	v_cvt_i32_f32_e32 v32, v32
	s_delay_alu instid0(VALU_DEP_2) | instskip(SKIP_1) | instid1(VALU_DEP_1)
	v_lshrrev_b32_e32 v33, 31, v1
	v_ashrrev_i32_e32 v1, 4, v1
	v_add_nc_u32_e32 v1, v1, v33
	s_delay_alu instid0(VALU_DEP_1) | instskip(NEXT) | instid1(VALU_DEP_1)
	v_mul_lo_u32 v1, v1, 30
	v_sub_nc_u32_e32 v1, v3, v1
	s_delay_alu instid0(VALU_DEP_1) | instskip(NEXT) | instid1(VALU_DEP_1)
	v_add_nc_u32_e32 v3, v1, v32
	v_mul_hi_i32 v32, 0x88888889, v3
	s_delay_alu instid0(VALU_DEP_1) | instskip(NEXT) | instid1(VALU_DEP_1)
	v_add_nc_u32_e32 v32, v32, v3
	v_lshrrev_b32_e32 v33, 31, v32
	v_ashrrev_i32_e32 v32, 4, v32
	s_delay_alu instid0(VALU_DEP_1) | instskip(NEXT) | instid1(VALU_DEP_1)
	v_add_nc_u32_e32 v32, v32, v33
	v_mul_lo_u32 v32, v32, 30
	s_delay_alu instid0(VALU_DEP_1) | instskip(NEXT) | instid1(VALU_DEP_1)
	v_sub_nc_u32_e32 v3, v3, v32
	v_cmpx_lt_i32_e32 0, v3
	s_cbranch_execz .LBB1_70
; %bb.68:                               ;   in Loop: Header=BB1_65 Depth=1
	v_sub_nc_u32_e32 v32, 0, v3
	s_mov_b32 s15, 0
	s_delay_alu instid0(VALU_DEP_1) | instskip(NEXT) | instid1(VALU_DEP_1)
	v_max_i32_e32 v32, v3, v32
	v_cvt_f32_u32_e32 v33, v32
	v_sub_nc_u32_e32 v34, 0, v32
	s_delay_alu instid0(VALU_DEP_2) | instskip(SKIP_2) | instid1(VALU_DEP_1)
	v_rcp_iflag_f32_e32 v33, v33
	s_waitcnt_depctr 0xfff
	v_mul_f32_e32 v33, 0x4f7ffffe, v33
	v_cvt_u32_f32_e32 v33, v33
	s_delay_alu instid0(VALU_DEP_1) | instskip(NEXT) | instid1(VALU_DEP_1)
	v_mul_lo_u32 v34, v34, v33
	v_mul_hi_u32 v34, v33, v34
	s_delay_alu instid0(VALU_DEP_1)
	v_dual_mov_b32 v34, v2 :: v_dual_add_nc_u32 v33, v33, v34
.LBB1_69:                               ;   Parent Loop BB1_65 Depth=1
                                        ; =>  This Inner Loop Header: Depth=2
	s_delay_alu instid0(VALU_DEP_1) | instskip(SKIP_2) | instid1(VALU_DEP_3)
	v_mul_hi_i32 v35, 0x88888889, v34
	v_ashrrev_i32_e32 v38, 31, v1
	v_add_nc_u32_e32 v3, -1, v3
	v_add_nc_u32_e32 v35, v35, v34
	s_delay_alu instid0(VALU_DEP_1) | instskip(SKIP_1) | instid1(VALU_DEP_1)
	v_lshrrev_b32_e32 v36, 31, v35
	v_ashrrev_i32_e32 v35, 4, v35
	v_add_nc_u32_e32 v35, v35, v36
	v_sub_nc_u32_e32 v36, 0, v1
	s_delay_alu instid0(VALU_DEP_1) | instskip(SKIP_1) | instid1(VALU_DEP_2)
	v_max_i32_e32 v36, v1, v36
	v_add_nc_u32_e32 v1, 1, v1
	v_mul_hi_u32 v37, v36, v33
	s_delay_alu instid0(VALU_DEP_1) | instskip(NEXT) | instid1(VALU_DEP_1)
	v_mul_lo_u32 v37, v37, v32
	v_sub_nc_u32_e32 v36, v36, v37
	s_delay_alu instid0(VALU_DEP_1) | instskip(SKIP_1) | instid1(VALU_DEP_2)
	v_sub_nc_u32_e32 v37, v36, v32
	v_cmp_ge_u32_e32 vcc_lo, v36, v32
	v_cndmask_b32_e32 v36, v36, v37, vcc_lo
	s_delay_alu instid0(VALU_DEP_1) | instskip(SKIP_1) | instid1(VALU_DEP_2)
	v_sub_nc_u32_e32 v37, v36, v32
	v_cmp_ge_u32_e32 vcc_lo, v36, v32
	v_cndmask_b32_e32 v36, v36, v37, vcc_lo
	v_mul_lo_u32 v35, v35, 30
	v_cmp_eq_u32_e32 vcc_lo, 0, v3
	s_delay_alu instid0(VALU_DEP_3) | instskip(SKIP_1) | instid1(VALU_DEP_3)
	v_xor_b32_e32 v36, v36, v38
	s_or_b32 s15, vcc_lo, s15
	v_sub_nc_u32_e32 v35, v34, v35
	s_delay_alu instid0(VALU_DEP_2) | instskip(SKIP_1) | instid1(VALU_DEP_3)
	v_sub_nc_u32_e32 v36, v36, v38
	v_add_nc_u32_e32 v34, 1, v34
	v_lshl_add_u32 v35, v35, 2, 0x1420
	s_delay_alu instid0(VALU_DEP_3) | instskip(SKIP_2) | instid1(VALU_DEP_1)
	v_add_nc_u32_e32 v36, v36, v2
	scratch_load_b32 v35, v35, off
	v_mul_hi_i32 v37, 0x88888889, v36
	v_add_nc_u32_e32 v37, v37, v36
	s_delay_alu instid0(VALU_DEP_1) | instskip(SKIP_1) | instid1(VALU_DEP_1)
	v_lshrrev_b32_e32 v38, 31, v37
	v_ashrrev_i32_e32 v37, 4, v37
	v_add_nc_u32_e32 v37, v37, v38
	s_delay_alu instid0(VALU_DEP_1) | instskip(NEXT) | instid1(VALU_DEP_1)
	v_mul_lo_u32 v37, v37, 30
	v_sub_nc_u32_e32 v36, v36, v37
	s_delay_alu instid0(VALU_DEP_1)
	v_lshl_add_u32 v36, v36, 2, 0x720
	s_waitcnt vmcnt(0)
	scratch_store_b32 v36, v35, off
	s_and_not1_b32 exec_lo, exec_lo, s15
	s_cbranch_execnz .LBB1_69
.LBB1_70:                               ;   in Loop: Header=BB1_65 Depth=1
	s_or_b32 exec_lo, exec_lo, s14
                                        ; implicit-def: $vgpr3
.LBB1_71:                               ;   in Loop: Header=BB1_65 Depth=1
	s_and_not1_saveexec_b32 s13, s13
	s_cbranch_execz .LBB1_82
; %bb.72:                               ;   in Loop: Header=BB1_65 Depth=1
	v_mad_u64_u32 v[1:2], null, 0x1984a2d, v3, 1
	s_mov_b32 s14, exec_lo
	s_delay_alu instid0(VALU_DEP_1) | instskip(NEXT) | instid1(VALU_DEP_1)
	v_and_b32_e32 v72, 0x7fffffff, v1
	v_cvt_f32_u32_e32 v2, v72
	s_delay_alu instid0(VALU_DEP_1) | instskip(NEXT) | instid1(VALU_DEP_1)
	v_mul_f32_e32 v2, 0x30000000, v2
	v_fma_f32 v2, v2, 2.0, 1.0
	s_delay_alu instid0(VALU_DEP_1)
	v_cmpx_lt_f32_e32 0, v2
	s_cbranch_execz .LBB1_81
; %bb.73:                               ;   in Loop: Header=BB1_65 Depth=1
	s_mov_b32 s15, 0
	s_mov_b32 s16, 0
	s_branch .LBB1_75
.LBB1_74:                               ;   in Loop: Header=BB1_75 Depth=2
	s_or_b32 exec_lo, exec_lo, s17
	v_mad_u64_u32 v[1:2], null, 0x1984a2d, v32, 1
	s_add_i32 s16, s16, 1
	s_delay_alu instid0(SALU_CYCLE_1) | instskip(NEXT) | instid1(VALU_DEP_2)
	v_cvt_f32_u32_e32 v3, s16
	v_and_b32_e32 v72, 0x7fffffff, v1
	s_delay_alu instid0(VALU_DEP_1) | instskip(NEXT) | instid1(VALU_DEP_1)
	v_cvt_f32_u32_e32 v2, v72
	v_mul_f32_e32 v2, 0x30000000, v2
	s_delay_alu instid0(VALU_DEP_1) | instskip(NEXT) | instid1(VALU_DEP_1)
	v_fma_f32 v2, v2, 2.0, 1.0
	v_cmp_ngt_f32_e32 vcc_lo, v2, v3
	s_or_b32 s15, vcc_lo, s15
	s_delay_alu instid0(SALU_CYCLE_1)
	s_and_not1_b32 exec_lo, exec_lo, s15
	s_cbranch_execz .LBB1_80
.LBB1_75:                               ;   Parent Loop BB1_65 Depth=1
                                        ; =>  This Loop Header: Depth=2
                                        ;       Child Loop BB1_78 Depth 3
	v_mad_u64_u32 v[2:3], null, 0x1984a2d, v1, 1
	v_mad_u64_u32 v[32:33], null, v1, s11, 0x1984a2e
	s_mov_b32 s17, exec_lo
	s_delay_alu instid0(VALU_DEP_2) | instskip(NEXT) | instid1(VALU_DEP_2)
	v_and_b32_e32 v2, 0x7fffffff, v2
	v_and_b32_e32 v3, 0x7fffffff, v32
	v_mad_u64_u32 v[32:33], null, v1, s12, 0xffffffff86865617
	s_delay_alu instid0(VALU_DEP_3) | instskip(NEXT) | instid1(VALU_DEP_3)
	v_cvt_f32_u32_e32 v2, v2
	v_cvt_f32_u32_e32 v3, v3
	s_delay_alu instid0(VALU_DEP_2) | instskip(NEXT) | instid1(VALU_DEP_4)
	v_mul_f32_e32 v2, 0x30000000, v2
	v_and_b32_e32 v32, 0x7fffffff, v32
	s_delay_alu instid0(VALU_DEP_3) | instskip(NEXT) | instid1(VALU_DEP_3)
	v_mul_f32_e32 v3, 0x30000000, v3
	v_mul_f32_e32 v2, 0x41f00000, v2
	s_delay_alu instid0(VALU_DEP_3) | instskip(NEXT) | instid1(VALU_DEP_3)
	v_cvt_f32_u32_e32 v33, v32
	v_mul_f32_e32 v3, 0x41f00000, v3
	s_delay_alu instid0(VALU_DEP_3) | instskip(NEXT) | instid1(VALU_DEP_3)
	v_cvt_i32_f32_e32 v2, v2
	v_mul_f32_e32 v33, 0x30000000, v33
	s_delay_alu instid0(VALU_DEP_3) | instskip(NEXT) | instid1(VALU_DEP_1)
	v_cvt_i32_f32_e32 v3, v3
	v_sub_nc_u32_e32 v34, v2, v3
	s_delay_alu instid0(VALU_DEP_1) | instskip(NEXT) | instid1(VALU_DEP_1)
	v_sub_nc_u32_e32 v1, 0, v34
	v_max_i32_e32 v1, v34, v1
	s_delay_alu instid0(VALU_DEP_1) | instskip(NEXT) | instid1(VALU_DEP_1)
	v_add_nc_u32_e32 v1, -1, v1
	v_cvt_f32_i32_e32 v1, v1
	s_delay_alu instid0(VALU_DEP_1) | instskip(NEXT) | instid1(VALU_DEP_1)
	v_fma_f32 v1, v33, v1, 1.0
	v_cvt_i32_f32_e32 v1, v1
	s_delay_alu instid0(VALU_DEP_1)
	v_cmpx_lt_i32_e32 0, v1
	s_cbranch_execz .LBB1_74
; %bb.76:                               ;   in Loop: Header=BB1_75 Depth=2
	s_mov_b32 s18, 0
	s_branch .LBB1_78
.LBB1_77:                               ;   in Loop: Header=BB1_78 Depth=3
	s_or_b32 exec_lo, exec_lo, s19
	v_add_nc_u32_e32 v1, -1, v1
	v_add_nc_u32_e32 v3, 1, v3
	v_add_nc_u32_e32 v2, 1, v2
	s_delay_alu instid0(VALU_DEP_3) | instskip(SKIP_1) | instid1(SALU_CYCLE_1)
	v_cmp_eq_u32_e32 vcc_lo, 0, v1
	s_or_b32 s18, vcc_lo, s18
	s_and_not1_b32 exec_lo, exec_lo, s18
	s_cbranch_execz .LBB1_74
.LBB1_78:                               ;   Parent Loop BB1_65 Depth=1
                                        ;     Parent Loop BB1_75 Depth=2
                                        ; =>    This Inner Loop Header: Depth=3
	v_mul_hi_i32 v33, 0x88888889, v2
	v_mul_hi_i32 v34, 0x88888889, v3
	s_mov_b32 s19, exec_lo
	s_delay_alu instid0(VALU_DEP_2) | instskip(NEXT) | instid1(VALU_DEP_2)
	v_add_nc_u32_e32 v33, v33, v2
	v_add_nc_u32_e32 v34, v34, v3
	s_delay_alu instid0(VALU_DEP_2) | instskip(SKIP_1) | instid1(VALU_DEP_3)
	v_lshrrev_b32_e32 v35, 31, v33
	v_ashrrev_i32_e32 v33, 4, v33
	v_lshrrev_b32_e32 v36, 31, v34
	v_ashrrev_i32_e32 v34, 4, v34
	s_delay_alu instid0(VALU_DEP_3) | instskip(NEXT) | instid1(VALU_DEP_2)
	v_add_nc_u32_e32 v33, v33, v35
	v_add_nc_u32_e32 v34, v34, v36
	s_delay_alu instid0(VALU_DEP_2) | instskip(NEXT) | instid1(VALU_DEP_2)
	v_mul_lo_u32 v33, v33, 30
	v_mul_lo_u32 v34, v34, 30
	s_delay_alu instid0(VALU_DEP_2) | instskip(NEXT) | instid1(VALU_DEP_2)
	v_sub_nc_u32_e32 v33, v2, v33
	v_sub_nc_u32_e32 v34, v3, v34
	s_delay_alu instid0(VALU_DEP_1)
	v_cmpx_ne_u32_e64 v33, v34
	s_cbranch_execz .LBB1_77
; %bb.79:                               ;   in Loop: Header=BB1_78 Depth=3
	v_lshl_add_u32 v34, v34, 2, 0x720
	v_lshl_add_u32 v33, v33, 2, 0x720
	s_clause 0x1
	scratch_load_b32 v35, v34, off
	scratch_load_b32 v36, v33, off
	s_waitcnt vmcnt(0)
	v_sub_nc_u32_e32 v35, v36, v35
	scratch_store_b32 v33, v35, off
	scratch_load_b32 v36, v34, off
	s_waitcnt vmcnt(0)
	v_add_nc_u32_e32 v35, v36, v35
	scratch_store_b32 v34, v35, off
	scratch_load_b32 v34, v33, off
	s_waitcnt vmcnt(0)
	v_sub_nc_u32_e32 v34, v35, v34
	scratch_store_b32 v33, v34, off
	s_branch .LBB1_77
.LBB1_80:                               ;   in Loop: Header=BB1_65 Depth=1
	s_or_b32 exec_lo, exec_lo, s15
.LBB1_81:                               ;   in Loop: Header=BB1_65 Depth=1
	s_delay_alu instid0(SALU_CYCLE_1)
	s_or_b32 exec_lo, exec_lo, s14
.LBB1_82:                               ;   in Loop: Header=BB1_65 Depth=1
	s_delay_alu instid0(SALU_CYCLE_1)
	s_or_b32 exec_lo, exec_lo, s13
                                        ; implicit-def: $vgpr3
.LBB1_83:                               ;   in Loop: Header=BB1_65 Depth=1
	s_and_not1_saveexec_b32 s0, s0
	s_cbranch_execz .LBB1_91
; %bb.84:                               ;   in Loop: Header=BB1_65 Depth=1
	v_mad_u64_u32 v[1:2], null, 0x1984a2d, v3, 1
	s_mov_b32 s13, exec_lo
	s_delay_alu instid0(VALU_DEP_1) | instskip(NEXT) | instid1(VALU_DEP_1)
	v_and_b32_e32 v72, 0x7fffffff, v1
	v_cvt_f32_u32_e32 v2, v72
	s_delay_alu instid0(VALU_DEP_1) | instskip(NEXT) | instid1(VALU_DEP_1)
	v_mul_f32_e32 v2, 0x30000000, v2
	v_fma_f32 v2, v2, 4.0, 1.0
	s_delay_alu instid0(VALU_DEP_1)
	v_cmpx_lt_f32_e32 0, v2
	s_cbranch_execz .LBB1_90
; %bb.85:                               ;   in Loop: Header=BB1_65 Depth=1
	s_mov_b32 s15, 1
	s_mov_b32 s14, 0
	s_branch .LBB1_87
.LBB1_86:                               ;   in Loop: Header=BB1_87 Depth=2
	s_or_b32 exec_lo, exec_lo, s16
	v_mad_u64_u32 v[1:2], null, 0x1984a2d, v3, 1
	v_cvt_f32_u32_e32 v3, s15
	s_add_i32 s15, s15, 1
	s_delay_alu instid0(VALU_DEP_2) | instskip(NEXT) | instid1(VALU_DEP_1)
	v_and_b32_e32 v72, 0x7fffffff, v1
	v_cvt_f32_u32_e32 v2, v72
	s_delay_alu instid0(VALU_DEP_1) | instskip(NEXT) | instid1(VALU_DEP_1)
	v_mul_f32_e32 v2, 0x30000000, v2
	v_fma_f32 v2, v2, 4.0, 1.0
	s_delay_alu instid0(VALU_DEP_1) | instskip(SKIP_1) | instid1(SALU_CYCLE_1)
	v_cmp_ngt_f32_e32 vcc_lo, v2, v3
	s_or_b32 s14, vcc_lo, s14
	s_and_not1_b32 exec_lo, exec_lo, s14
	s_cbranch_execz .LBB1_89
.LBB1_87:                               ;   Parent Loop BB1_65 Depth=1
                                        ; =>  This Inner Loop Header: Depth=2
	v_mad_u64_u32 v[2:3], null, 0x1984a2d, v1, 1
	v_mad_u64_u32 v[32:33], null, v1, s11, 0x1984a2e
	s_mov_b32 s16, exec_lo
	s_delay_alu instid0(VALU_DEP_2) | instskip(NEXT) | instid1(VALU_DEP_2)
	v_and_b32_e32 v1, 0x7fffffff, v2
	v_and_b32_e32 v3, 0x7fffffff, v32
	s_delay_alu instid0(VALU_DEP_2) | instskip(NEXT) | instid1(VALU_DEP_2)
	v_cvt_f32_u32_e32 v1, v1
	v_cvt_f32_u32_e32 v2, v3
	s_delay_alu instid0(VALU_DEP_1) | instskip(NEXT) | instid1(VALU_DEP_1)
	v_dual_mul_f32 v1, 0x30000000, v1 :: v_dual_mul_f32 v2, 0x30000000, v2
	v_dual_mul_f32 v1, 0x41f00000, v1 :: v_dual_mul_f32 v2, 0x41f00000, v2
	s_delay_alu instid0(VALU_DEP_1) | instskip(NEXT) | instid1(VALU_DEP_2)
	v_cvt_i32_f32_e32 v1, v1
	v_cvt_i32_f32_e32 v2, v2
	s_delay_alu instid0(VALU_DEP_1)
	v_cmpx_ne_u32_e64 v1, v2
	s_cbranch_execz .LBB1_86
; %bb.88:                               ;   in Loop: Header=BB1_87 Depth=2
	v_lshl_add_u32 v2, v2, 2, 0x720
	v_lshl_add_u32 v1, v1, 2, 0x720
	s_clause 0x1
	scratch_load_b32 v32, v2, off
	scratch_load_b32 v33, v1, off
	s_waitcnt vmcnt(0)
	v_sub_nc_u32_e32 v32, v33, v32
	scratch_store_b32 v1, v32, off
	scratch_load_b32 v33, v2, off
	s_waitcnt vmcnt(0)
	v_add_nc_u32_e32 v32, v33, v32
	scratch_store_b32 v2, v32, off
	scratch_load_b32 v2, v1, off
	s_waitcnt vmcnt(0)
	v_sub_nc_u32_e32 v2, v32, v2
	scratch_store_b32 v1, v2, off
	s_branch .LBB1_86
.LBB1_89:                               ;   in Loop: Header=BB1_65 Depth=1
	s_or_b32 exec_lo, exec_lo, s14
.LBB1_90:                               ;   in Loop: Header=BB1_65 Depth=1
	s_delay_alu instid0(SALU_CYCLE_1)
	s_or_b32 exec_lo, exec_lo, s13
.LBB1_91:                               ;   in Loop: Header=BB1_65 Depth=1
	s_delay_alu instid0(SALU_CYCLE_1)
	s_or_b32 exec_lo, exec_lo, s0
	s_clause 0x7
	scratch_load_b128 v[32:35], off, off offset:1824
	scratch_load_b128 v[36:39], off, off offset:1840
	;; [unrolled: 1-line block ×7, first 2 shown]
	scratch_load_b64 v[69:70], off, off offset:1936
	v_mov_b32_e32 v1, v0
	v_dual_mov_b32 v2, v0 :: v_dual_mov_b32 v63, s7
	v_dual_mov_b32 v3, v0 :: v_dual_mov_b32 v60, s4
	;; [unrolled: 1-line block ×3, first 2 shown]
	v_mov_b32_e32 v66, v65
	scratch_store_b128 off, v[0:3], off offset:1696
	v_mov_b32_e32 v3, v65
	s_mov_b32 s13, 0
	s_clause 0x6
	scratch_store_b128 off, v[60:63], off offset:1728
	scratch_store_b128 off, v[0:3], off offset:1712
	;; [unrolled: 1-line block ×6, first 2 shown]
	scratch_store_b64 off, v[65:66], off offset:1808
	s_branch .LBB1_93
.LBB1_92:                               ;   in Loop: Header=BB1_93 Depth=2
	s_or_b32 exec_lo, exec_lo, s14
	s_add_i32 s13, s13, 1
	s_delay_alu instid0(SALU_CYCLE_1)
	s_cmp_lg_u32 s13, 30
	s_cbranch_scc0 .LBB1_96
.LBB1_93:                               ;   Parent Loop BB1_65 Depth=1
                                        ; =>  This Loop Header: Depth=2
                                        ;       Child Loop BB1_95 Depth 3
	s_lshl_b32 s0, s13, 2
	s_delay_alu instid0(SALU_CYCLE_1)
	s_add_i32 s14, s0, 0x6a0
	scratch_load_b32 v60, off, s14
	s_mov_b32 s14, exec_lo
	s_waitcnt vmcnt(0)
	v_cmpx_lt_i32_e32 0, v60
	s_cbranch_execz .LBB1_92
; %bb.94:                               ;   in Loop: Header=BB1_93 Depth=2
	s_addk_i32 s0, 0x720
	s_mov_b32 s15, 0
	scratch_load_b32 v3, off, s0
	s_waitcnt vmcnt(0)
	v_cmp_lt_i32_e32 vcc_lo, v32, v3
	v_cndmask_b32_e64 v1, 0, 14, vcc_lo
	v_cmp_lt_i32_e32 vcc_lo, v33, v3
	s_delay_alu instid0(VALU_DEP_2) | instskip(NEXT) | instid1(VALU_DEP_1)
	v_add_nc_u32_e32 v2, 14, v1
	v_cndmask_b32_e32 v1, v1, v2, vcc_lo
	v_cmp_lt_i32_e32 vcc_lo, v34, v3
	s_delay_alu instid0(VALU_DEP_2) | instskip(NEXT) | instid1(VALU_DEP_1)
	v_add_nc_u32_e32 v2, 14, v1
	v_cndmask_b32_e32 v1, v1, v2, vcc_lo
	;; [unrolled: 4-line block ×29, first 2 shown]
	s_delay_alu instid0(VALU_DEP_1) | instskip(NEXT) | instid1(VALU_DEP_1)
	v_ashrrev_i32_e32 v2, 31, v1
	v_lshlrev_b64 v[61:62], 2, v[1:2]
	v_mad_u64_u32 v[1:2], null, v3, 56, s[10:11]
	s_waitcnt lgkmcnt(0)
	s_delay_alu instid0(VALU_DEP_2) | instskip(NEXT) | instid1(VALU_DEP_3)
	v_add_co_u32 v2, vcc_lo, s8, v61
	v_add_co_ci_u32_e32 v3, vcc_lo, s9, v62, vcc_lo
.LBB1_95:                               ;   Parent Loop BB1_65 Depth=1
                                        ;     Parent Loop BB1_93 Depth=2
                                        ; =>    This Inner Loop Header: Depth=3
	global_load_b32 v61, v[2:3], off
	v_add_nc_u32_e32 v60, -1, v60
	v_add_co_u32 v2, vcc_lo, v2, 4
	v_add_co_ci_u32_e32 v3, vcc_lo, 0, v3, vcc_lo
	s_delay_alu instid0(VALU_DEP_3) | instskip(NEXT) | instid1(VALU_DEP_1)
	v_cmp_eq_u32_e64 s0, 0, v60
	s_or_b32 s15, s0, s15
	s_waitcnt vmcnt(0)
	scratch_store_b32 v1, v61, off
	v_add_nc_u32_e32 v1, 4, v1
	s_and_not1_b32 exec_lo, exec_lo, s15
	s_cbranch_execnz .LBB1_95
	s_branch .LBB1_92
.LBB1_96:                               ;   in Loop: Header=BB1_65 Depth=1
	s_mov_b32 s0, 7
	s_mov_b32 s13, 0
	s_branch .LBB1_98
.LBB1_97:                               ;   in Loop: Header=BB1_98 Depth=2
	s_and_not1_b32 vcc_lo, exec_lo, s14
	s_cbranch_vccz .LBB1_100
.LBB1_98:                               ;   Parent Loop BB1_65 Depth=1
                                        ; =>  This Inner Loop Header: Depth=2
	s_add_i32 s14, s0, -7
	s_add_i32 s15, s0, -6
	s_and_b32 s16, s14, 0xffff
	s_add_i32 s17, s0, -5
	s_mul_i32 s16, s16, 0x8889
	s_and_b32 s18, s15, 0xffff
	s_and_b32 s19, s17, 0xffff
	s_lshr_b32 s16, s16, 20
	s_mul_i32 s18, s18, 0x8889
	s_mul_i32 s19, s19, 0x8889
	;; [unrolled: 1-line block ×3, first 2 shown]
	s_lshr_b32 s18, s18, 20
	s_lshr_b32 s19, s19, 20
	s_sub_i32 s14, s14, s20
	s_mul_i32 s20, s18, 30
	s_mul_i32 s21, s19, 30
	s_sub_i32 s15, s15, s20
	s_sub_i32 s17, s17, s21
	s_add_i32 s20, s0, -4
	s_add_i32 s21, s0, -3
	s_and_b32 s22, s20, 0xffff
	s_and_b32 s23, s21, 0xffff
	s_mul_i32 s22, s22, 0x8889
	s_mul_i32 s23, s23, 0x8889
	s_lshr_b32 s22, s22, 20
	s_lshr_b32 s23, s23, 20
	s_mul_i32 s24, s22, 30
	s_mul_i32 s25, s23, 30
	s_and_b32 s14, s14, 0xffff
	s_sub_i32 s20, s20, s24
	s_sub_i32 s21, s21, s25
	s_and_b32 s15, s15, 0xffff
	s_lshl_b32 s14, s14, 2
	s_and_b32 s17, s17, 0xffff
	s_and_b32 s20, s20, 0xffff
	;; [unrolled: 1-line block ×3, first 2 shown]
	s_lshl_b32 s15, s15, 2
	s_addk_i32 s14, 0x720
	s_lshl_b32 s17, s17, 2
	s_lshl_b32 s20, s20, 2
	;; [unrolled: 1-line block ×3, first 2 shown]
	s_addk_i32 s15, 0x720
	s_addk_i32 s17, 0x720
	;; [unrolled: 1-line block ×4, first 2 shown]
	s_clause 0x4
	scratch_load_b32 v1, off, s14
	scratch_load_b32 v2, off, s15
	;; [unrolled: 1-line block ×5, first 2 shown]
	s_lshl_b32 s14, s16, 2
	s_lshl_b32 s15, s18, 2
	;; [unrolled: 1-line block ×5, first 2 shown]
	s_waitcnt vmcnt(4)
	v_mul_lo_u32 v1, v1, 56
	s_waitcnt vmcnt(3)
	v_mul_lo_u32 v2, v2, 56
	;; [unrolled: 2-line block ×5, first 2 shown]
	v_add3_u32 v1, 16, s14, v1
	v_add3_u32 v2, 16, s15, v2
	;; [unrolled: 1-line block ×5, first 2 shown]
	s_clause 0x4
	scratch_load_b32 v60, v1, off
	scratch_load_b32 v61, v2, off
	;; [unrolled: 1-line block ×5, first 2 shown]
	v_add_nc_u32_e64 v1, 0x7a0, s13
	s_add_i32 s15, s13, 0x7a0
	s_mov_b32 s14, -1
	s_cmpk_eq_i32 s0, 0x18f
	s_delay_alu instid0(VALU_DEP_1)
	v_add_nc_u32_e32 v3, 16, v1
	s_waitcnt vmcnt(1)
	scratch_store_b128 off, v[60:63], s15
	s_waitcnt vmcnt(0)
	scratch_store_b32 v3, v2, off
	s_cbranch_scc1 .LBB1_97
; %bb.99:                               ;   in Loop: Header=BB1_98 Depth=2
	s_add_i32 s14, s0, -2
	s_add_i32 s15, s0, -1
	s_and_b32 s16, s14, 0xffff
	s_and_b32 s18, s15, 0xffff
	s_mul_i32 s16, s16, 0x8889
	s_and_b32 s17, s0, 0xffff
	s_lshr_b32 s16, s16, 20
	s_mul_i32 s18, s18, 0x8889
	s_mul_i32 s17, s17, 0x8889
	;; [unrolled: 1-line block ×3, first 2 shown]
	s_lshr_b32 s18, s18, 20
	s_lshr_b32 s17, s17, 20
	s_sub_i32 s14, s14, s19
	s_mul_i32 s19, s18, 30
	s_mul_i32 s20, s17, 30
	s_sub_i32 s15, s15, s19
	s_and_b32 s14, s14, 0xffff
	s_sub_i32 s19, s0, s20
	s_and_b32 s15, s15, 0xffff
	s_lshl_b32 s14, s14, 2
	s_and_b32 s19, s19, 0xffff
	s_lshl_b32 s15, s15, 2
	s_addk_i32 s14, 0x720
	s_lshl_b32 s19, s19, 2
	s_addk_i32 s15, 0x720
	s_addk_i32 s19, 0x720
	s_clause 0x2
	scratch_load_b32 v2, off, s14
	scratch_load_b32 v3, off, s15
	;; [unrolled: 1-line block ×3, first 2 shown]
	s_lshl_b32 s15, s16, 2
	s_lshl_b32 s16, s18, 2
	;; [unrolled: 1-line block ×3, first 2 shown]
	v_add_nc_u32_e32 v1, 20, v1
	s_add_i32 s0, s0, 8
	s_add_i32 s13, s13, 32
	s_waitcnt vmcnt(2)
	v_mul_lo_u32 v2, v2, 56
	s_waitcnt vmcnt(1)
	v_mul_lo_u32 v3, v3, 56
	;; [unrolled: 2-line block ×3, first 2 shown]
	s_delay_alu instid0(VALU_DEP_3) | instskip(NEXT) | instid1(VALU_DEP_3)
	v_add3_u32 v2, 16, s15, v2
	v_add3_u32 v3, 16, s16, v3
	s_delay_alu instid0(VALU_DEP_3)
	v_add3_u32 v62, 16, s14, v60
	s_clause 0x2
	scratch_load_b32 v60, v2, off
	scratch_load_b32 v61, v3, off
	;; [unrolled: 1-line block ×3, first 2 shown]
	s_mov_b32 s14, 0
	s_waitcnt vmcnt(0)
	scratch_store_b96 v1, v[60:62], off
	s_branch .LBB1_97
.LBB1_100:                              ;   in Loop: Header=BB1_65 Depth=1
	scratch_load_b32 v1, off, off offset:1952
	v_mov_b32_e32 v66, 0
	s_mov_b32 s0, 0
	s_waitcnt vmcnt(0)
	v_mov_b32_e32 v63, v1
.LBB1_101:                              ;   Parent Loop BB1_65 Depth=1
                                        ; =>  This Inner Loop Header: Depth=2
	v_readfirstlane_b32 s13, v71
	s_delay_alu instid0(VALU_DEP_2) | instskip(NEXT) | instid1(VALU_DEP_2)
	v_mul_lo_u32 v2, v63, 26
	s_add_i32 s13, s13, s0
	s_add_i32 s0, s0, 48
	;; [unrolled: 1-line block ×3, first 2 shown]
	scratch_load_b128 v[74:77], off, s14
	s_add_i32 s14, s13, 20
	s_add_i32 s13, s13, 36
	s_clause 0x1
	scratch_load_b128 v[78:81], off, s14
	scratch_load_b128 v[60:63], off, s13
	s_cmpk_lg_i32 s0, 0x630
	s_waitcnt vmcnt(2)
	v_mul_lo_u32 v3, v74, 26
	v_add_lshl_u32 v2, v2, v74, 2
	v_mul_lo_u32 v74, v75, 26
	v_mul_lo_u32 v82, v76, 26
	;; [unrolled: 1-line block ×3, first 2 shown]
	s_waitcnt vmcnt(1)
	v_mul_lo_u32 v84, v78, 26
	ds_load_b32 v2, v2
	v_mul_lo_u32 v85, v79, 26
	v_add_lshl_u32 v3, v3, v75, 2
	v_mul_lo_u32 v86, v80, 26
	v_add_lshl_u32 v74, v74, v76, 2
	v_add_lshl_u32 v75, v82, v77, 2
	;; [unrolled: 1-line block ×3, first 2 shown]
	ds_load_b32 v3, v3
	v_add_lshl_u32 v77, v84, v79, 2
	ds_load_b32 v74, v74
	v_add_lshl_u32 v78, v85, v80, 2
	v_add_lshl_u32 v79, v86, v81, 2
	ds_load_b32 v75, v75
	ds_load_b32 v76, v76
	;; [unrolled: 1-line block ×5, first 2 shown]
	s_waitcnt lgkmcnt(0)
	v_add_f32_e32 v2, v66, v2
	s_waitcnt vmcnt(0)
	v_mul_lo_u32 v66, v60, 26
	s_delay_alu instid0(VALU_DEP_2) | instskip(SKIP_1) | instid1(VALU_DEP_2)
	v_add_f32_e32 v2, v2, v3
	v_mul_lo_u32 v3, v81, 26
	v_add_f32_e32 v2, v2, v74
	s_delay_alu instid0(VALU_DEP_2) | instskip(NEXT) | instid1(VALU_DEP_2)
	v_add_lshl_u32 v3, v3, v60, 2
	v_add_f32_e32 v2, v2, v75
	v_mul_lo_u32 v60, v61, 26
	v_add_lshl_u32 v61, v66, v61, 2
	v_mul_lo_u32 v66, v62, 26
	ds_load_b32 v3, v3
	v_add_f32_e32 v2, v2, v76
	ds_load_b32 v61, v61
	v_add_lshl_u32 v60, v60, v62, 2
	v_add_f32_e32 v2, v2, v77
	v_add_lshl_u32 v62, v66, v63, 2
	s_delay_alu instid0(VALU_DEP_2) | instskip(SKIP_4) | instid1(VALU_DEP_1)
	v_add_f32_e32 v2, v2, v78
	ds_load_b32 v62, v62
	ds_load_b32 v60, v60
	v_add_f32_e32 v2, v2, v79
	s_waitcnt lgkmcnt(3)
	v_add_f32_e32 v2, v2, v3
	s_waitcnt lgkmcnt(2)
	s_delay_alu instid0(VALU_DEP_1) | instskip(SKIP_1) | instid1(VALU_DEP_1)
	v_add_f32_e32 v2, v2, v61
	s_waitcnt lgkmcnt(0)
	v_add_f32_e32 v2, v2, v60
	s_delay_alu instid0(VALU_DEP_1)
	v_add_f32_e32 v66, v2, v62
	s_cbranch_scc1 .LBB1_101
; %bb.102:                              ;   in Loop: Header=BB1_65 Depth=1
	s_mov_b32 s0, exec_lo
	s_delay_alu instid0(VALU_DEP_1)
	v_cmpx_nlt_f32_e32 v66, v73
	s_xor_b32 s0, exec_lo, s0
	s_cbranch_execnz .LBB1_104
; %bb.103:                              ;   in Loop: Header=BB1_65 Depth=1
	s_and_not1_saveexec_b32 s0, s0
	s_cbranch_execz .LBB1_64
	s_branch .LBB1_105
.LBB1_104:                              ;   in Loop: Header=BB1_65 Depth=1
	s_clause 0x7
	scratch_store_b128 off, v[4:7], off offset:1824
	scratch_store_b128 off, v[8:11], off offset:1840
	;; [unrolled: 1-line block ×7, first 2 shown]
	scratch_store_b64 off, v[67:68], off offset:1936
                                        ; implicit-def: $vgpr32
                                        ; implicit-def: $vgpr36
                                        ; implicit-def: $vgpr40
                                        ; implicit-def: $vgpr44
                                        ; implicit-def: $vgpr48
                                        ; implicit-def: $vgpr52
                                        ; implicit-def: $vgpr56
                                        ; implicit-def: $vgpr69
                                        ; implicit-def: $vgpr1
	s_and_not1_saveexec_b32 s0, s0
	s_cbranch_execz .LBB1_64
.LBB1_105:                              ;   in Loop: Header=BB1_65 Depth=1
	s_mov_b32 s13, 0
	s_branch .LBB1_107
	.p2align	6
.LBB1_106:                              ;   in Loop: Header=BB1_107 Depth=2
	v_add_nc_u32_e32 v1, 20, v6
	s_add_i32 s13, s13, 32
	scratch_load_b128 v[6:9], v1, off
	s_waitcnt vmcnt(0)
	v_dual_mov_b32 v1, v9 :: v_dual_add_nc_u32 v2, 20, v5
	scratch_store_b96 v2, v[6:8], off
	s_cbranch_execz .LBB1_63
.LBB1_107:                              ;   Parent Loop BB1_65 Depth=1
                                        ; =>  This Inner Loop Header: Depth=2
	v_add_nc_u32_e64 v6, 0x7a0, s13
	v_add_nc_u32_e64 v5, 0xde0, s13
	s_add_i32 s14, s13, 0xde0
	s_cmpk_eq_i32 s13, 0x620
	s_delay_alu instid0(VALU_DEP_2)
	v_add_nc_u32_e32 v2, 4, v6
	scratch_load_b128 v[7:10], v2, off
	s_waitcnt vmcnt(0)
	v_dual_mov_b32 v3, v8 :: v_dual_mov_b32 v2, v7
	v_dual_mov_b32 v4, v9 :: v_dual_add_nc_u32 v7, 16, v5
	s_clause 0x1
	scratch_store_b128 off, v[1:4], s14
	scratch_store_b32 v7, v10, off
	s_cbranch_scc0 .LBB1_106
; %bb.108:                              ;   in Loop: Header=BB1_65 Depth=1
                                        ; implicit-def: $vgpr1
                                        ; implicit-def: $sgpr13
	s_branch .LBB1_63
.LBB1_109:
	v_mul_lo_u32 v0, 0x18d, v64
	s_mov_b64 s[0:1], 0
	s_delay_alu instid0(VALU_DEP_1) | instskip(NEXT) | instid1(VALU_DEP_1)
	v_ashrrev_i32_e32 v1, 31, v0
	v_lshlrev_b64 v[0:1], 2, v[0:1]
	s_delay_alu instid0(VALU_DEP_1) | instskip(NEXT) | instid1(VALU_DEP_2)
	v_add_co_u32 v2, vcc_lo, s2, v0
	v_add_co_ci_u32_e32 v3, vcc_lo, s3, v1, vcc_lo
	s_set_inst_prefetch_distance 0x1
	s_branch .LBB1_111
	.p2align	6
.LBB1_110:                              ;   in Loop: Header=BB1_111 Depth=1
	s_and_not1_b32 vcc_lo, exec_lo, s2
	s_cbranch_vccz .LBB1_113
.LBB1_111:                              ; =>This Inner Loop Header: Depth=1
	v_add_nc_u32_e64 v4, 0xde0, s0
	s_add_i32 s2, s0, 0xde0
	s_cmpk_eq_i32 s0, 0x620
	s_delay_alu instid0(VALU_DEP_1)
	v_add_nc_u32_e32 v0, 16, v4
	s_clause 0x1
	scratch_load_b128 v[5:8], off, s2
	scratch_load_b32 v9, v0, off
	v_add_co_u32 v0, vcc_lo, v2, s0
	v_add_co_ci_u32_e32 v1, vcc_lo, s1, v3, vcc_lo
	s_mov_b32 s2, -1
	s_waitcnt vmcnt(1)
	global_store_b128 v[0:1], v[5:8], off
	s_waitcnt vmcnt(0)
	global_store_b32 v[0:1], v9, off offset:16
	s_cbranch_scc1 .LBB1_110
; %bb.112:                              ;   in Loop: Header=BB1_111 Depth=1
	v_add_nc_u32_e32 v4, 20, v4
	s_add_u32 s0, s0, 32
	s_addc_u32 s1, s1, 0
	s_mov_b32 s2, 0
	scratch_load_b96 v[4:6], v4, off
	s_waitcnt vmcnt(0)
	global_store_b96 v[0:1], v[4:6], off offset:20
	s_branch .LBB1_110
.LBB1_113:
	s_set_inst_prefetch_distance 0x2
	s_endpgm
	.section	.rodata,"a",@progbits
	.p2align	6, 0x0
	.amdhsa_kernel _Z6decodePKfPKiPKjPi
		.amdhsa_group_segment_fixed_size 2704
		.amdhsa_private_segment_fixed_size 5280
		.amdhsa_kernarg_size 288
		.amdhsa_user_sgpr_count 15
		.amdhsa_user_sgpr_dispatch_ptr 0
		.amdhsa_user_sgpr_queue_ptr 0
		.amdhsa_user_sgpr_kernarg_segment_ptr 1
		.amdhsa_user_sgpr_dispatch_id 0
		.amdhsa_user_sgpr_private_segment_size 0
		.amdhsa_wavefront_size32 1
		.amdhsa_uses_dynamic_stack 0
		.amdhsa_enable_private_segment 1
		.amdhsa_system_sgpr_workgroup_id_x 1
		.amdhsa_system_sgpr_workgroup_id_y 0
		.amdhsa_system_sgpr_workgroup_id_z 0
		.amdhsa_system_sgpr_workgroup_info 0
		.amdhsa_system_vgpr_workitem_id 0
		.amdhsa_next_free_vgpr 87
		.amdhsa_next_free_sgpr 84
		.amdhsa_reserve_vcc 1
		.amdhsa_float_round_mode_32 0
		.amdhsa_float_round_mode_16_64 0
		.amdhsa_float_denorm_mode_32 3
		.amdhsa_float_denorm_mode_16_64 3
		.amdhsa_dx10_clamp 1
		.amdhsa_ieee_mode 1
		.amdhsa_fp16_overflow 0
		.amdhsa_workgroup_processor_mode 1
		.amdhsa_memory_ordered 1
		.amdhsa_forward_progress 0
		.amdhsa_shared_vgpr_count 0
		.amdhsa_exception_fp_ieee_invalid_op 0
		.amdhsa_exception_fp_denorm_src 0
		.amdhsa_exception_fp_ieee_div_zero 0
		.amdhsa_exception_fp_ieee_overflow 0
		.amdhsa_exception_fp_ieee_underflow 0
		.amdhsa_exception_fp_ieee_inexact 0
		.amdhsa_exception_int_div_zero 0
	.end_amdhsa_kernel
	.text
.Lfunc_end1:
	.size	_Z6decodePKfPKiPKjPi, .Lfunc_end1-_Z6decodePKfPKiPKjPi
                                        ; -- End function
	.section	.AMDGPU.csdata,"",@progbits
; Kernel info:
; codeLenInByte = 14600
; NumSgprs: 86
; NumVgprs: 87
; ScratchSize: 5280
; MemoryBound: 0
; FloatMode: 240
; IeeeMode: 1
; LDSByteSize: 2704 bytes/workgroup (compile time only)
; SGPRBlocks: 10
; VGPRBlocks: 10
; NumSGPRsForWavesPerEU: 86
; NumVGPRsForWavesPerEU: 87
; Occupancy: 16
; WaveLimiterHint : 0
; COMPUTE_PGM_RSRC2:SCRATCH_EN: 1
; COMPUTE_PGM_RSRC2:USER_SGPR: 15
; COMPUTE_PGM_RSRC2:TRAP_HANDLER: 0
; COMPUTE_PGM_RSRC2:TGID_X_EN: 1
; COMPUTE_PGM_RSRC2:TGID_Y_EN: 0
; COMPUTE_PGM_RSRC2:TGID_Z_EN: 0
; COMPUTE_PGM_RSRC2:TIDIG_COMP_CNT: 0
	.text
	.p2alignl 7, 3214868480
	.fill 96, 4, 3214868480
	.type	__hip_cuid_73b1b6a4371bf74a,@object ; @__hip_cuid_73b1b6a4371bf74a
	.section	.bss,"aw",@nobits
	.globl	__hip_cuid_73b1b6a4371bf74a
__hip_cuid_73b1b6a4371bf74a:
	.byte	0                               ; 0x0
	.size	__hip_cuid_73b1b6a4371bf74a, 1

	.ident	"AMD clang version 19.0.0git (https://github.com/RadeonOpenCompute/llvm-project roc-6.4.0 25133 c7fe45cf4b819c5991fe208aaa96edf142730f1d)"
	.section	".note.GNU-stack","",@progbits
	.addrsig
	.addrsig_sym __hip_cuid_73b1b6a4371bf74a
	.amdgpu_metadata
---
amdhsa.kernels:
  - .args:
      - .address_space:  global
        .offset:         0
        .size:           8
        .value_kind:     global_buffer
      - .offset:         8
        .size:           4
        .value_kind:     hidden_block_count_x
      - .offset:         12
        .size:           4
        .value_kind:     hidden_block_count_y
      - .offset:         16
        .size:           4
        .value_kind:     hidden_block_count_z
      - .offset:         20
        .size:           2
        .value_kind:     hidden_group_size_x
      - .offset:         22
        .size:           2
        .value_kind:     hidden_group_size_y
      - .offset:         24
        .size:           2
        .value_kind:     hidden_group_size_z
      - .offset:         26
        .size:           2
        .value_kind:     hidden_remainder_x
      - .offset:         28
        .size:           2
        .value_kind:     hidden_remainder_y
      - .offset:         30
        .size:           2
        .value_kind:     hidden_remainder_z
      - .offset:         48
        .size:           8
        .value_kind:     hidden_global_offset_x
      - .offset:         56
        .size:           8
        .value_kind:     hidden_global_offset_y
      - .offset:         64
        .size:           8
        .value_kind:     hidden_global_offset_z
      - .offset:         72
        .size:           2
        .value_kind:     hidden_grid_dims
    .group_segment_fixed_size: 0
    .kernarg_segment_align: 8
    .kernarg_segment_size: 264
    .language:       OpenCL C
    .language_version:
      - 2
      - 0
    .max_flat_workgroup_size: 1024
    .name:           _Z11setupKernelPj
    .private_segment_fixed_size: 0
    .sgpr_count:     18
    .sgpr_spill_count: 0
    .symbol:         _Z11setupKernelPj.kd
    .uniform_work_group_size: 1
    .uses_dynamic_stack: false
    .vgpr_count:     6
    .vgpr_spill_count: 0
    .wavefront_size: 32
    .workgroup_processor_mode: 1
  - .args:
      - .actual_access:  read_only
        .address_space:  global
        .offset:         0
        .size:           8
        .value_kind:     global_buffer
      - .actual_access:  read_only
        .address_space:  global
        .offset:         8
        .size:           8
        .value_kind:     global_buffer
      - .actual_access:  read_only
        .address_space:  global
        .offset:         16
        .size:           8
        .value_kind:     global_buffer
      - .actual_access:  write_only
        .address_space:  global
        .offset:         24
        .size:           8
        .value_kind:     global_buffer
      - .offset:         32
        .size:           4
        .value_kind:     hidden_block_count_x
      - .offset:         36
        .size:           4
        .value_kind:     hidden_block_count_y
      - .offset:         40
        .size:           4
        .value_kind:     hidden_block_count_z
      - .offset:         44
        .size:           2
        .value_kind:     hidden_group_size_x
      - .offset:         46
        .size:           2
        .value_kind:     hidden_group_size_y
      - .offset:         48
        .size:           2
        .value_kind:     hidden_group_size_z
      - .offset:         50
        .size:           2
        .value_kind:     hidden_remainder_x
      - .offset:         52
        .size:           2
        .value_kind:     hidden_remainder_y
      - .offset:         54
        .size:           2
        .value_kind:     hidden_remainder_z
      - .offset:         72
        .size:           8
        .value_kind:     hidden_global_offset_x
      - .offset:         80
        .size:           8
        .value_kind:     hidden_global_offset_y
      - .offset:         88
        .size:           8
        .value_kind:     hidden_global_offset_z
      - .offset:         96
        .size:           2
        .value_kind:     hidden_grid_dims
    .group_segment_fixed_size: 2704
    .kernarg_segment_align: 8
    .kernarg_segment_size: 288
    .language:       OpenCL C
    .language_version:
      - 2
      - 0
    .max_flat_workgroup_size: 1024
    .name:           _Z6decodePKfPKiPKjPi
    .private_segment_fixed_size: 5280
    .sgpr_count:     86
    .sgpr_spill_count: 0
    .symbol:         _Z6decodePKfPKiPKjPi.kd
    .uniform_work_group_size: 1
    .uses_dynamic_stack: false
    .vgpr_count:     87
    .vgpr_spill_count: 0
    .wavefront_size: 32
    .workgroup_processor_mode: 1
amdhsa.target:   amdgcn-amd-amdhsa--gfx1100
amdhsa.version:
  - 1
  - 2
...

	.end_amdgpu_metadata
